;; amdgpu-corpus repo=ROCm/rocFFT kind=compiled arch=gfx906 opt=O3
	.text
	.amdgcn_target "amdgcn-amd-amdhsa--gfx906"
	.amdhsa_code_object_version 6
	.protected	fft_rtc_fwd_len704_factors_2_2_2_2_11_2_2_wgs_176_tpt_88_halfLds_half_op_CI_CI_unitstride_sbrr_C2R_dirReg ; -- Begin function fft_rtc_fwd_len704_factors_2_2_2_2_11_2_2_wgs_176_tpt_88_halfLds_half_op_CI_CI_unitstride_sbrr_C2R_dirReg
	.globl	fft_rtc_fwd_len704_factors_2_2_2_2_11_2_2_wgs_176_tpt_88_halfLds_half_op_CI_CI_unitstride_sbrr_C2R_dirReg
	.p2align	8
	.type	fft_rtc_fwd_len704_factors_2_2_2_2_11_2_2_wgs_176_tpt_88_halfLds_half_op_CI_CI_unitstride_sbrr_C2R_dirReg,@function
fft_rtc_fwd_len704_factors_2_2_2_2_11_2_2_wgs_176_tpt_88_halfLds_half_op_CI_CI_unitstride_sbrr_C2R_dirReg: ; @fft_rtc_fwd_len704_factors_2_2_2_2_11_2_2_wgs_176_tpt_88_halfLds_half_op_CI_CI_unitstride_sbrr_C2R_dirReg
; %bb.0:
	s_load_dwordx4 s[8:11], s[4:5], 0x58
	s_load_dwordx4 s[12:15], s[4:5], 0x0
	;; [unrolled: 1-line block ×3, first 2 shown]
	v_mul_u32_u24_e32 v1, 0x2e9, v0
	v_lshrrev_b32_e32 v5, 16, v1
	v_mov_b32_e32 v8, 0
	s_waitcnt lgkmcnt(0)
	v_cmp_lt_u64_e64 s[0:1], s[14:15], 2
	v_mov_b32_e32 v6, 0
	v_lshl_add_u32 v10, s6, 1, v5
	v_mov_b32_e32 v11, v8
	s_and_b64 vcc, exec, s[0:1]
	v_mov_b32_e32 v7, 0
	s_cbranch_vccnz .LBB0_8
; %bb.1:
	s_load_dwordx2 s[0:1], s[4:5], 0x10
	s_add_u32 s2, s18, 8
	s_addc_u32 s3, s19, 0
	s_add_u32 s6, s16, 8
	s_addc_u32 s7, s17, 0
	v_mov_b32_e32 v6, 0
	s_waitcnt lgkmcnt(0)
	s_add_u32 s20, s0, 8
	v_mov_b32_e32 v7, 0
	v_mov_b32_e32 v1, v6
	s_addc_u32 s21, s1, 0
	s_mov_b64 s[22:23], 1
	v_mov_b32_e32 v2, v7
.LBB0_2:                                ; =>This Inner Loop Header: Depth=1
	s_load_dwordx2 s[24:25], s[20:21], 0x0
                                        ; implicit-def: $vgpr3_vgpr4
	s_waitcnt lgkmcnt(0)
	v_or_b32_e32 v9, s25, v11
	v_cmp_ne_u64_e32 vcc, 0, v[8:9]
	s_and_saveexec_b64 s[0:1], vcc
	s_xor_b64 s[26:27], exec, s[0:1]
	s_cbranch_execz .LBB0_4
; %bb.3:                                ;   in Loop: Header=BB0_2 Depth=1
	v_cvt_f32_u32_e32 v3, s24
	v_cvt_f32_u32_e32 v4, s25
	s_sub_u32 s0, 0, s24
	s_subb_u32 s1, 0, s25
	v_mac_f32_e32 v3, 0x4f800000, v4
	v_rcp_f32_e32 v3, v3
	v_mul_f32_e32 v3, 0x5f7ffffc, v3
	v_mul_f32_e32 v4, 0x2f800000, v3
	v_trunc_f32_e32 v4, v4
	v_mac_f32_e32 v3, 0xcf800000, v4
	v_cvt_u32_f32_e32 v4, v4
	v_cvt_u32_f32_e32 v3, v3
	v_mul_lo_u32 v9, s0, v4
	v_mul_hi_u32 v12, s0, v3
	v_mul_lo_u32 v14, s1, v3
	v_mul_lo_u32 v13, s0, v3
	v_add_u32_e32 v9, v12, v9
	v_add_u32_e32 v9, v9, v14
	v_mul_hi_u32 v12, v3, v13
	v_mul_lo_u32 v14, v3, v9
	v_mul_hi_u32 v16, v3, v9
	v_mul_hi_u32 v15, v4, v13
	v_mul_lo_u32 v13, v4, v13
	v_mul_hi_u32 v17, v4, v9
	v_add_co_u32_e32 v12, vcc, v12, v14
	v_addc_co_u32_e32 v14, vcc, 0, v16, vcc
	v_mul_lo_u32 v9, v4, v9
	v_add_co_u32_e32 v12, vcc, v12, v13
	v_addc_co_u32_e32 v12, vcc, v14, v15, vcc
	v_addc_co_u32_e32 v13, vcc, 0, v17, vcc
	v_add_co_u32_e32 v9, vcc, v12, v9
	v_addc_co_u32_e32 v12, vcc, 0, v13, vcc
	v_add_co_u32_e32 v3, vcc, v3, v9
	v_addc_co_u32_e32 v4, vcc, v4, v12, vcc
	v_mul_lo_u32 v9, s0, v4
	v_mul_hi_u32 v12, s0, v3
	v_mul_lo_u32 v13, s1, v3
	v_mul_lo_u32 v14, s0, v3
	v_add_u32_e32 v9, v12, v9
	v_add_u32_e32 v9, v9, v13
	v_mul_lo_u32 v15, v3, v9
	v_mul_hi_u32 v16, v3, v14
	v_mul_hi_u32 v17, v3, v9
	;; [unrolled: 1-line block ×3, first 2 shown]
	v_mul_lo_u32 v14, v4, v14
	v_mul_hi_u32 v12, v4, v9
	v_add_co_u32_e32 v15, vcc, v16, v15
	v_addc_co_u32_e32 v16, vcc, 0, v17, vcc
	v_mul_lo_u32 v9, v4, v9
	v_add_co_u32_e32 v14, vcc, v15, v14
	v_addc_co_u32_e32 v13, vcc, v16, v13, vcc
	v_addc_co_u32_e32 v12, vcc, 0, v12, vcc
	v_add_co_u32_e32 v9, vcc, v13, v9
	v_addc_co_u32_e32 v12, vcc, 0, v12, vcc
	v_add_co_u32_e32 v9, vcc, v3, v9
	v_addc_co_u32_e32 v12, vcc, v4, v12, vcc
	v_mad_u64_u32 v[3:4], s[0:1], v10, v12, 0
	v_mul_hi_u32 v13, v10, v9
	v_add_co_u32_e32 v14, vcc, v13, v3
	v_addc_co_u32_e32 v15, vcc, 0, v4, vcc
	v_mad_u64_u32 v[3:4], s[0:1], v11, v9, 0
	v_mad_u64_u32 v[12:13], s[0:1], v11, v12, 0
	v_add_co_u32_e32 v3, vcc, v14, v3
	v_addc_co_u32_e32 v3, vcc, v15, v4, vcc
	v_addc_co_u32_e32 v4, vcc, 0, v13, vcc
	v_add_co_u32_e32 v9, vcc, v3, v12
	v_addc_co_u32_e32 v12, vcc, 0, v4, vcc
	v_mul_lo_u32 v13, s25, v9
	v_mul_lo_u32 v14, s24, v12
	v_mad_u64_u32 v[3:4], s[0:1], s24, v9, 0
	v_add3_u32 v4, v4, v14, v13
	v_sub_u32_e32 v13, v11, v4
	v_mov_b32_e32 v14, s25
	v_sub_co_u32_e32 v3, vcc, v10, v3
	v_subb_co_u32_e64 v13, s[0:1], v13, v14, vcc
	v_subrev_co_u32_e64 v14, s[0:1], s24, v3
	v_subbrev_co_u32_e64 v13, s[0:1], 0, v13, s[0:1]
	v_cmp_le_u32_e64 s[0:1], s25, v13
	v_cndmask_b32_e64 v15, 0, -1, s[0:1]
	v_cmp_le_u32_e64 s[0:1], s24, v14
	v_cndmask_b32_e64 v14, 0, -1, s[0:1]
	v_cmp_eq_u32_e64 s[0:1], s25, v13
	v_cndmask_b32_e64 v13, v15, v14, s[0:1]
	v_add_co_u32_e64 v14, s[0:1], 2, v9
	v_addc_co_u32_e64 v15, s[0:1], 0, v12, s[0:1]
	v_add_co_u32_e64 v16, s[0:1], 1, v9
	v_addc_co_u32_e64 v17, s[0:1], 0, v12, s[0:1]
	v_subb_co_u32_e32 v4, vcc, v11, v4, vcc
	v_cmp_ne_u32_e64 s[0:1], 0, v13
	v_cmp_le_u32_e32 vcc, s25, v4
	v_cndmask_b32_e64 v13, v17, v15, s[0:1]
	v_cndmask_b32_e64 v15, 0, -1, vcc
	v_cmp_le_u32_e32 vcc, s24, v3
	v_cndmask_b32_e64 v3, 0, -1, vcc
	v_cmp_eq_u32_e32 vcc, s25, v4
	v_cndmask_b32_e32 v3, v15, v3, vcc
	v_cmp_ne_u32_e32 vcc, 0, v3
	v_cndmask_b32_e64 v3, v16, v14, s[0:1]
	v_cndmask_b32_e32 v4, v12, v13, vcc
	v_cndmask_b32_e32 v3, v9, v3, vcc
.LBB0_4:                                ;   in Loop: Header=BB0_2 Depth=1
	s_andn2_saveexec_b64 s[0:1], s[26:27]
	s_cbranch_execz .LBB0_6
; %bb.5:                                ;   in Loop: Header=BB0_2 Depth=1
	v_cvt_f32_u32_e32 v3, s24
	s_sub_i32 s26, 0, s24
	v_rcp_iflag_f32_e32 v3, v3
	v_mul_f32_e32 v3, 0x4f7ffffe, v3
	v_cvt_u32_f32_e32 v3, v3
	v_mul_lo_u32 v4, s26, v3
	v_mul_hi_u32 v4, v3, v4
	v_add_u32_e32 v3, v3, v4
	v_mul_hi_u32 v3, v10, v3
	v_mul_lo_u32 v4, v3, s24
	v_add_u32_e32 v9, 1, v3
	v_sub_u32_e32 v4, v10, v4
	v_subrev_u32_e32 v12, s24, v4
	v_cmp_le_u32_e32 vcc, s24, v4
	v_cndmask_b32_e32 v4, v4, v12, vcc
	v_cndmask_b32_e32 v3, v3, v9, vcc
	v_add_u32_e32 v9, 1, v3
	v_cmp_le_u32_e32 vcc, s24, v4
	v_cndmask_b32_e32 v3, v3, v9, vcc
	v_mov_b32_e32 v4, v8
.LBB0_6:                                ;   in Loop: Header=BB0_2 Depth=1
	s_or_b64 exec, exec, s[0:1]
	v_mul_lo_u32 v9, v4, s24
	v_mul_lo_u32 v14, v3, s25
	v_mad_u64_u32 v[12:13], s[0:1], v3, s24, 0
	s_load_dwordx2 s[0:1], s[6:7], 0x0
	s_load_dwordx2 s[24:25], s[2:3], 0x0
	v_add3_u32 v9, v13, v14, v9
	v_sub_co_u32_e32 v10, vcc, v10, v12
	v_subb_co_u32_e32 v9, vcc, v11, v9, vcc
	s_waitcnt lgkmcnt(0)
	v_mul_lo_u32 v11, s0, v9
	v_mul_lo_u32 v12, s1, v10
	v_mad_u64_u32 v[6:7], s[0:1], s0, v10, v[6:7]
	v_mul_lo_u32 v9, s24, v9
	v_mul_lo_u32 v13, s25, v10
	v_mad_u64_u32 v[1:2], s[0:1], s24, v10, v[1:2]
	s_add_u32 s22, s22, 1
	s_addc_u32 s23, s23, 0
	s_add_u32 s2, s2, 8
	v_add3_u32 v2, v13, v2, v9
	s_addc_u32 s3, s3, 0
	v_mov_b32_e32 v9, s14
	s_add_u32 s6, s6, 8
	v_mov_b32_e32 v10, s15
	s_addc_u32 s7, s7, 0
	v_cmp_ge_u64_e32 vcc, s[22:23], v[9:10]
	s_add_u32 s20, s20, 8
	v_add3_u32 v7, v12, v7, v11
	s_addc_u32 s21, s21, 0
	s_cbranch_vccnz .LBB0_9
; %bb.7:                                ;   in Loop: Header=BB0_2 Depth=1
	v_mov_b32_e32 v11, v4
	v_mov_b32_e32 v10, v3
	s_branch .LBB0_2
.LBB0_8:
	v_mov_b32_e32 v1, v6
	v_mov_b32_e32 v3, v10
	;; [unrolled: 1-line block ×4, first 2 shown]
.LBB0_9:
	s_load_dwordx2 s[2:3], s[4:5], 0x28
	s_lshl_b64 s[6:7], s[14:15], 3
	s_add_u32 s14, s18, s6
	v_and_b32_e32 v5, 1, v5
	s_addc_u32 s15, s19, s7
	s_waitcnt lgkmcnt(0)
	v_cmp_gt_u64_e32 vcc, s[2:3], v[3:4]
	v_cmp_le_u64_e64 s[2:3], s[2:3], v[3:4]
	v_cmp_eq_u32_e64 s[0:1], 1, v5
	v_mov_b32_e32 v10, 0x2c1
                                        ; implicit-def: $vgpr5
                                        ; implicit-def: $vgpr8_vgpr9
	s_and_saveexec_b64 s[4:5], s[2:3]
	s_xor_b64 s[2:3], exec, s[4:5]
; %bb.10:
	s_mov_b32 s4, 0x2e8ba2f
	v_mul_hi_u32 v5, v0, s4
	v_mov_b32_e32 v6, 0
	v_mul_u32_u24_e32 v5, 0x58, v5
	v_sub_u32_e32 v5, v0, v5
	v_mov_b32_e32 v9, v6
	v_mov_b32_e32 v8, v5
                                        ; implicit-def: $vgpr0
                                        ; implicit-def: $vgpr6_vgpr7
; %bb.11:
	s_or_saveexec_b64 s[4:5], s[2:3]
	s_load_dwordx2 s[2:3], s[14:15], 0x0
	v_cndmask_b32_e64 v21, 0, v10, s[0:1]
	v_lshlrev_b32_e32 v23, 2, v21
	s_xor_b64 exec, exec, s[4:5]
	s_cbranch_execz .LBB0_15
; %bb.12:
	s_add_u32 s0, s16, s6
	s_addc_u32 s1, s17, s7
	s_load_dwordx2 s[0:1], s[0:1], 0x0
	s_mov_b32 s6, 0x2e8ba2f
	v_mul_hi_u32 v5, v0, s6
	v_lshlrev_b64 v[6:7], 2, v[6:7]
	s_waitcnt lgkmcnt(0)
	v_mul_lo_u32 v10, s1, v3
	v_mul_lo_u32 v11, s0, v4
	v_mad_u64_u32 v[8:9], s[0:1], s0, v3, 0
	v_mul_u32_u24_e32 v5, 0x58, v5
	v_sub_u32_e32 v5, v0, v5
	v_add3_u32 v9, v9, v11, v10
	v_lshlrev_b64 v[8:9], 2, v[8:9]
	v_mov_b32_e32 v0, s9
	v_add_co_u32_e64 v8, s[0:1], s8, v8
	v_addc_co_u32_e64 v0, s[0:1], v0, v9, s[0:1]
	v_add_co_u32_e64 v10, s[0:1], v8, v6
	v_addc_co_u32_e64 v11, s[0:1], v0, v7, s[0:1]
	v_lshlrev_b32_e32 v0, 2, v5
	v_add_co_u32_e64 v6, s[0:1], v10, v0
	v_addc_co_u32_e64 v7, s[0:1], 0, v11, s[0:1]
	global_load_dword v8, v[6:7], off
	global_load_dword v9, v[6:7], off offset:352
	global_load_dword v12, v[6:7], off offset:704
	global_load_dword v13, v[6:7], off offset:1056
	global_load_dword v14, v[6:7], off offset:1408
	global_load_dword v15, v[6:7], off offset:1760
	global_load_dword v16, v[6:7], off offset:2112
	global_load_dword v17, v[6:7], off offset:2464
	v_mov_b32_e32 v6, 0
	v_add3_u32 v0, 0, v23, v0
	s_movk_i32 s0, 0x57
	v_add_u32_e32 v7, 0x200, v0
	v_add_u32_e32 v18, 0x400, v0
	;; [unrolled: 1-line block ×3, first 2 shown]
	v_cmp_eq_u32_e64 s[0:1], s0, v5
	s_waitcnt vmcnt(6)
	ds_write2_b32 v0, v8, v9 offset1:88
	s_waitcnt vmcnt(4)
	ds_write2_b32 v7, v12, v13 offset0:48 offset1:136
	s_waitcnt vmcnt(2)
	ds_write2_b32 v18, v14, v15 offset0:96 offset1:184
	;; [unrolled: 2-line block ×3, first 2 shown]
	v_mov_b32_e32 v9, v6
	v_mov_b32_e32 v8, v5
	s_and_saveexec_b64 s[6:7], s[0:1]
	s_cbranch_execz .LBB0_14
; %bb.13:
	global_load_dword v5, v[10:11], off offset:2816
	v_mov_b32_e32 v8, 0x57
	v_mov_b32_e32 v9, 0
	s_waitcnt vmcnt(0)
	ds_write_b32 v0, v5 offset:2468
	v_mov_b32_e32 v5, 0x57
.LBB0_14:
	s_or_b64 exec, exec, s[6:7]
.LBB0_15:
	s_or_b64 exec, exec, s[4:5]
	v_lshl_add_u32 v0, v21, 2, 0
	v_lshlrev_b32_e32 v24, 2, v5
	v_add_u32_e32 v22, v0, v24
	s_waitcnt lgkmcnt(0)
	s_barrier
	v_sub_u32_e32 v11, v0, v24
	ds_read_u16 v6, v22
	ds_read_u16 v10, v11 offset:2816
	v_lshlrev_b64 v[7:8], 2, v[8:9]
	v_cmp_ne_u32_e64 s[0:1], 0, v5
	s_waitcnt lgkmcnt(0)
	v_add_f16_e32 v12, v10, v6
	v_sub_f16_e32 v13, v6, v10
	s_and_saveexec_b64 s[4:5], s[0:1]
	s_xor_b64 s[4:5], exec, s[4:5]
	s_cbranch_execz .LBB0_17
; %bb.16:
	v_mov_b32_e32 v9, s13
	v_add_co_u32_e64 v12, s[0:1], s12, v7
	v_addc_co_u32_e64 v13, s[0:1], v9, v8, s[0:1]
	global_load_dword v9, v[12:13], off offset:2808
	ds_read_u16 v12, v11 offset:2818
	ds_read_u16 v13, v22 offset:2
	v_add_f16_e32 v14, v10, v6
	v_sub_f16_e32 v6, v6, v10
	s_waitcnt lgkmcnt(0)
	v_add_f16_e32 v10, v12, v13
	v_sub_f16_e32 v12, v13, v12
	s_waitcnt vmcnt(0)
	v_lshrrev_b32_e32 v13, 16, v9
	v_fma_f16 v15, v6, v13, v14
	v_fma_f16 v16, v10, v13, v12
	v_fma_f16 v14, -v6, v13, v14
	v_fma_f16 v17, v10, v13, -v12
	v_fma_f16 v12, -v9, v10, v15
	v_fma_f16 v13, v6, v9, v16
	v_fma_f16 v10, v9, v10, v14
	;; [unrolled: 1-line block ×3, first 2 shown]
	v_pack_b32_f16 v6, v10, v6
	ds_write_b32 v11, v6 offset:2816
.LBB0_17:
	s_andn2_saveexec_b64 s[0:1], s[4:5]
	s_cbranch_execz .LBB0_19
; %bb.18:
	ds_read_b32 v6, v0 offset:1408
	s_mov_b32 s4, 0xc0004000
	s_waitcnt lgkmcnt(0)
	v_pk_mul_f16 v6, v6, s4
	ds_write_b32 v0, v6 offset:1408
.LBB0_19:
	s_or_b64 exec, exec, s[0:1]
	v_mov_b32_e32 v6, 0
	s_add_u32 s0, s12, 0xaf8
	v_lshlrev_b64 v[9:10], 2, v[5:6]
	s_addc_u32 s1, s13, 0
	v_mov_b32_e32 v6, s1
	v_add_co_u32_e64 v14, s[0:1], s0, v9
	v_addc_co_u32_e64 v15, s[0:1], v6, v10, s[0:1]
	global_load_dword v16, v[14:15], off offset:352
	global_load_dword v17, v[14:15], off offset:704
	;; [unrolled: 1-line block ×3, first 2 shown]
	s_mov_b32 s0, 0x5040100
	v_perm_b32 v12, v13, v12, s0
	ds_write_b32 v22, v12
	ds_read_b32 v12, v22 offset:352
	ds_read_b32 v13, v11 offset:2464
	v_add_u32_e32 v14, 0, v24
	v_add_u32_e32 v19, 0x58, v5
	;; [unrolled: 1-line block ×4, first 2 shown]
	s_waitcnt lgkmcnt(0)
	v_add_f16_e32 v28, v12, v13
	v_add_f16_sdwa v29, v13, v12 dst_sel:DWORD dst_unused:UNUSED_PAD src0_sel:WORD_1 src1_sel:WORD_1
	v_sub_f16_e32 v30, v12, v13
	v_sub_f16_sdwa v12, v12, v13 dst_sel:DWORD dst_unused:UNUSED_PAD src0_sel:WORD_1 src1_sel:WORD_1
	v_add_u32_e32 v25, v14, v24
	v_lshlrev_b32_e32 v14, 3, v19
	v_lshlrev_b32_e32 v15, 3, v20
	v_add_u32_e32 v26, 0x108, v5
	v_lshlrev_b32_e32 v27, 3, v26
	v_add3_u32 v27, 0, v27, v23
	s_movk_i32 s0, 0xfc
	s_movk_i32 s1, 0x1fc
	;; [unrolled: 1-line block ×3, first 2 shown]
	v_lshlrev_b32_e32 v19, 1, v19
	v_lshlrev_b32_e32 v20, 1, v20
	;; [unrolled: 1-line block ×3, first 2 shown]
	s_mov_b32 s4, 0xffff
	s_movk_i32 s6, 0x1f0
	s_movk_i32 s7, 0x3f0
	s_waitcnt vmcnt(2)
	v_lshrrev_b32_e32 v13, 16, v16
	v_fma_f16 v31, v30, v13, v28
	v_fma_f16 v32, v29, v13, v12
	v_fma_f16 v28, -v30, v13, v28
	v_fma_f16 v12, v29, v13, -v12
	v_fma_f16 v13, -v16, v29, v31
	v_fma_f16 v31, v30, v16, v32
	v_fma_f16 v28, v16, v29, v28
	;; [unrolled: 1-line block ×3, first 2 shown]
	v_pack_b32_f16 v13, v13, v31
	v_pack_b32_f16 v12, v28, v12
	ds_write_b32 v22, v13 offset:352
	ds_write_b32 v11, v12 offset:2464
	ds_read_b32 v12, v22 offset:704
	ds_read_b32 v13, v11 offset:2112
	s_waitcnt vmcnt(1)
	v_lshrrev_b32_e32 v16, 16, v17
	v_add_u32_e32 v28, 0x400, v6
	v_add_u32_e32 v29, 0x600, v6
	;; [unrolled: 1-line block ×3, first 2 shown]
	s_waitcnt lgkmcnt(0)
	v_add_f16_e32 v31, v12, v13
	v_add_f16_sdwa v32, v13, v12 dst_sel:DWORD dst_unused:UNUSED_PAD src0_sel:WORD_1 src1_sel:WORD_1
	v_sub_f16_e32 v33, v12, v13
	v_sub_f16_sdwa v12, v12, v13 dst_sel:DWORD dst_unused:UNUSED_PAD src0_sel:WORD_1 src1_sel:WORD_1
	v_fma_f16 v13, v33, v16, v31
	v_fma_f16 v34, v32, v16, v12
	v_fma_f16 v31, -v33, v16, v31
	v_fma_f16 v12, v32, v16, -v12
	v_fma_f16 v13, -v17, v32, v13
	v_fma_f16 v16, v33, v17, v34
	v_fma_f16 v31, v17, v32, v31
	;; [unrolled: 1-line block ×3, first 2 shown]
	v_pack_b32_f16 v13, v13, v16
	v_pack_b32_f16 v12, v31, v12
	ds_write_b32 v22, v13 offset:704
	ds_write_b32 v11, v12 offset:2112
	ds_read_b32 v12, v22 offset:1056
	ds_read_b32 v13, v11 offset:1760
	v_add3_u32 v17, 0, v14, v23
	v_add3_u32 v31, 0, v15, v23
	s_waitcnt vmcnt(0)
	v_lshrrev_b32_e32 v14, 16, v18
	s_waitcnt lgkmcnt(0)
	v_add_f16_e32 v15, v12, v13
	v_add_f16_sdwa v16, v13, v12 dst_sel:DWORD dst_unused:UNUSED_PAD src0_sel:WORD_1 src1_sel:WORD_1
	v_sub_f16_e32 v32, v12, v13
	v_sub_f16_sdwa v12, v12, v13 dst_sel:DWORD dst_unused:UNUSED_PAD src0_sel:WORD_1 src1_sel:WORD_1
	v_fma_f16 v13, v32, v14, v15
	v_fma_f16 v33, v16, v14, v12
	v_fma_f16 v15, -v32, v14, v15
	v_fma_f16 v12, v16, v14, -v12
	v_fma_f16 v13, -v18, v16, v13
	v_fma_f16 v14, v32, v18, v33
	v_fma_f16 v15, v18, v16, v15
	;; [unrolled: 1-line block ×3, first 2 shown]
	v_pack_b32_f16 v13, v13, v14
	v_pack_b32_f16 v12, v15, v12
	ds_write_b32 v22, v13 offset:1056
	ds_write_b32 v11, v12 offset:1760
	s_waitcnt lgkmcnt(0)
	s_barrier
	s_barrier
	ds_read2_b32 v[11:12], v28 offset0:8 offset1:96
	ds_read2_b32 v[13:14], v6 offset0:88 offset1:176
	;; [unrolled: 1-line block ×3, first 2 shown]
	ds_read_b32 v18, v22
	ds_read_b32 v32, v6 offset:2464
	s_waitcnt lgkmcnt(0)
	s_barrier
	v_pk_add_f16 v15, v13, v15 neg_lo:[0,1] neg_hi:[0,1]
	v_pk_add_f16 v12, v18, v12 neg_lo:[0,1] neg_hi:[0,1]
	v_pk_add_f16 v32, v11, v32 neg_lo:[0,1] neg_hi:[0,1]
	v_pk_add_f16 v16, v14, v16 neg_lo:[0,1] neg_hi:[0,1]
	v_pk_fma_f16 v18, v18, 2.0, v12 op_sel_hi:[1,0,1] neg_lo:[0,0,1] neg_hi:[0,0,1]
	v_pk_fma_f16 v11, v11, 2.0, v32 op_sel_hi:[1,0,1] neg_lo:[0,0,1] neg_hi:[0,0,1]
	;; [unrolled: 1-line block ×4, first 2 shown]
	ds_write2_b32 v30, v18, v12 offset1:1
	ds_write2_b32 v17, v13, v15 offset1:1
	ds_write2_b32 v31, v14, v16 offset1:1
	ds_write2_b32 v27, v11, v32 offset1:1
	v_and_b32_e32 v11, 1, v5
	v_lshlrev_b32_e32 v12, 2, v11
	s_waitcnt lgkmcnt(0)
	s_barrier
	global_load_dword v17, v12, s[12:13]
	v_lshlrev_b32_e32 v18, 1, v5
	v_and_or_b32 v12, v18, s0, v11
	v_lshlrev_b32_e32 v12, 2, v12
	v_and_or_b32 v13, v19, s1, v11
	v_and_or_b32 v14, v20, s5, v11
	;; [unrolled: 1-line block ×3, first 2 shown]
	v_add3_u32 v31, 0, v12, v23
	v_lshlrev_b32_e32 v12, 2, v13
	v_lshlrev_b32_e32 v13, 2, v14
	;; [unrolled: 1-line block ×3, first 2 shown]
	v_add3_u32 v32, 0, v12, v23
	v_add3_u32 v33, 0, v13, v23
	;; [unrolled: 1-line block ×3, first 2 shown]
	ds_read2_b32 v[11:12], v28 offset0:8 offset1:96
	ds_read_b32 v35, v22
	ds_read_b32 v36, v6 offset:2464
	ds_read2_b32 v[13:14], v6 offset0:88 offset1:176
	ds_read2_b32 v[15:16], v29 offset0:56 offset1:144
	v_and_b32_e32 v27, 3, v5
	v_lshlrev_b32_e32 v30, 2, v27
	s_waitcnt vmcnt(0) lgkmcnt(0)
	s_barrier
	s_movk_i32 s0, 0xf8
	s_movk_i32 s1, 0x1f8
	;; [unrolled: 1-line block ×3, first 2 shown]
	v_pk_mul_f16 v37, v17, v12 op_sel:[0,1]
	v_pk_mul_f16 v38, v17, v15 op_sel:[0,1]
	;; [unrolled: 1-line block ×4, first 2 shown]
	v_pk_fma_f16 v41, v17, v12, v37 op_sel:[0,0,1] op_sel_hi:[1,1,0] neg_lo:[0,0,1] neg_hi:[0,0,1]
	v_pk_fma_f16 v12, v17, v12, v37 op_sel:[0,0,1] op_sel_hi:[1,0,0]
	v_pk_fma_f16 v37, v17, v15, v38 op_sel:[0,0,1] op_sel_hi:[1,1,0] neg_lo:[0,0,1] neg_hi:[0,0,1]
	v_pk_fma_f16 v15, v17, v15, v38 op_sel:[0,0,1] op_sel_hi:[1,0,0]
	v_pk_fma_f16 v38, v17, v16, v39 op_sel:[0,0,1] op_sel_hi:[1,1,0] neg_lo:[0,0,1] neg_hi:[0,0,1]
	v_pk_fma_f16 v16, v17, v16, v39 op_sel:[0,0,1] op_sel_hi:[1,0,0]
	v_pk_fma_f16 v39, v17, v36, v40 op_sel:[0,0,1] op_sel_hi:[1,1,0] neg_lo:[0,0,1] neg_hi:[0,0,1]
	v_pk_fma_f16 v17, v17, v36, v40 op_sel:[0,0,1] op_sel_hi:[1,0,0]
	v_bfi_b32 v12, s4, v41, v12
	v_bfi_b32 v15, s4, v37, v15
	;; [unrolled: 1-line block ×4, first 2 shown]
	v_pk_add_f16 v12, v35, v12 neg_lo:[0,1] neg_hi:[0,1]
	v_pk_add_f16 v15, v13, v15 neg_lo:[0,1] neg_hi:[0,1]
	;; [unrolled: 1-line block ×4, first 2 shown]
	v_pk_fma_f16 v35, v35, 2.0, v12 op_sel_hi:[1,0,1] neg_lo:[0,0,1] neg_hi:[0,0,1]
	v_pk_fma_f16 v13, v13, 2.0, v15 op_sel_hi:[1,0,1] neg_lo:[0,0,1] neg_hi:[0,0,1]
	;; [unrolled: 1-line block ×4, first 2 shown]
	ds_write2_b32 v31, v35, v12 offset1:2
	ds_write2_b32 v32, v13, v15 offset1:2
	;; [unrolled: 1-line block ×4, first 2 shown]
	s_waitcnt lgkmcnt(0)
	s_barrier
	global_load_dword v17, v30, s[12:13] offset:8
	v_and_or_b32 v11, v18, s0, v27
	v_lshlrev_b32_e32 v11, 2, v11
	v_and_or_b32 v12, v19, s1, v27
	v_and_or_b32 v13, v20, s5, v27
	;; [unrolled: 1-line block ×3, first 2 shown]
	v_add3_u32 v27, 0, v11, v23
	v_lshlrev_b32_e32 v11, 2, v12
	v_lshlrev_b32_e32 v12, 2, v13
	;; [unrolled: 1-line block ×3, first 2 shown]
	v_add3_u32 v32, 0, v11, v23
	v_add3_u32 v33, 0, v12, v23
	;; [unrolled: 1-line block ×3, first 2 shown]
	ds_read2_b32 v[11:12], v28 offset0:8 offset1:96
	ds_read_b32 v35, v22
	ds_read_b32 v36, v6 offset:2464
	ds_read2_b32 v[13:14], v6 offset0:88 offset1:176
	ds_read2_b32 v[15:16], v29 offset0:56 offset1:144
	v_and_b32_e32 v30, 7, v5
	v_lshlrev_b32_e32 v31, 2, v30
	s_waitcnt vmcnt(0) lgkmcnt(0)
	s_barrier
	s_movk_i32 s5, 0xf0
	v_cmp_gt_u32_e64 s[0:1], 64, v5
	v_pk_mul_f16 v37, v17, v12 op_sel:[0,1]
	v_pk_mul_f16 v38, v17, v15 op_sel:[0,1]
	;; [unrolled: 1-line block ×4, first 2 shown]
	v_pk_fma_f16 v41, v17, v12, v37 op_sel:[0,0,1] op_sel_hi:[1,1,0] neg_lo:[0,0,1] neg_hi:[0,0,1]
	v_pk_fma_f16 v12, v17, v12, v37 op_sel:[0,0,1] op_sel_hi:[1,0,0]
	v_pk_fma_f16 v37, v17, v15, v38 op_sel:[0,0,1] op_sel_hi:[1,1,0] neg_lo:[0,0,1] neg_hi:[0,0,1]
	v_pk_fma_f16 v15, v17, v15, v38 op_sel:[0,0,1] op_sel_hi:[1,0,0]
	;; [unrolled: 2-line block ×4, first 2 shown]
	v_bfi_b32 v12, s4, v41, v12
	v_bfi_b32 v15, s4, v37, v15
	;; [unrolled: 1-line block ×4, first 2 shown]
	v_pk_add_f16 v12, v35, v12 neg_lo:[0,1] neg_hi:[0,1]
	v_pk_add_f16 v15, v13, v15 neg_lo:[0,1] neg_hi:[0,1]
	;; [unrolled: 1-line block ×4, first 2 shown]
	v_pk_fma_f16 v35, v35, 2.0, v12 op_sel_hi:[1,0,1] neg_lo:[0,0,1] neg_hi:[0,0,1]
	v_pk_fma_f16 v13, v13, 2.0, v15 op_sel_hi:[1,0,1] neg_lo:[0,0,1] neg_hi:[0,0,1]
	v_pk_fma_f16 v14, v14, 2.0, v16 op_sel_hi:[1,0,1] neg_lo:[0,0,1] neg_hi:[0,0,1]
	v_pk_fma_f16 v11, v11, 2.0, v17 op_sel_hi:[1,0,1] neg_lo:[0,0,1] neg_hi:[0,0,1]
	ds_write2_b32 v27, v35, v12 offset1:4
	ds_write2_b32 v32, v13, v15 offset1:4
	;; [unrolled: 1-line block ×4, first 2 shown]
	s_waitcnt lgkmcnt(0)
	s_barrier
	global_load_dword v13, v31, s[12:13] offset:24
	v_and_or_b32 v11, v18, s5, v30
	v_and_or_b32 v12, v19, s6, v30
	;; [unrolled: 1-line block ×4, first 2 shown]
	v_lshlrev_b32_e32 v11, 2, v11
	v_add3_u32 v20, 0, v11, v23
	v_lshlrev_b32_e32 v11, 2, v12
	v_lshlrev_b32_e32 v12, 2, v14
	;; [unrolled: 1-line block ×3, first 2 shown]
	v_add3_u32 v27, 0, v11, v23
	v_add3_u32 v31, 0, v12, v23
	;; [unrolled: 1-line block ×3, first 2 shown]
	ds_read2_b32 v[11:12], v29 offset0:56 offset1:144
	ds_read2_b32 v[14:15], v28 offset0:8 offset1:96
	;; [unrolled: 1-line block ×3, first 2 shown]
	ds_read_b32 v16, v6 offset:2464
	ds_read_b32 v26, v22
	s_waitcnt vmcnt(0) lgkmcnt(0)
	s_barrier
	v_pk_mul_f16 v17, v13, v12 op_sel:[0,1]
	v_pk_mul_f16 v28, v13, v11 op_sel:[0,1]
	;; [unrolled: 1-line block ×4, first 2 shown]
	v_pk_fma_f16 v33, v13, v12, v17 op_sel:[0,0,1] op_sel_hi:[1,1,0] neg_lo:[0,0,1] neg_hi:[0,0,1]
	v_pk_fma_f16 v12, v13, v12, v17 op_sel:[0,0,1] op_sel_hi:[1,0,0]
	v_pk_fma_f16 v17, v13, v11, v28 op_sel:[0,0,1] op_sel_hi:[1,1,0] neg_lo:[0,0,1] neg_hi:[0,0,1]
	v_pk_fma_f16 v11, v13, v11, v28 op_sel:[0,0,1] op_sel_hi:[1,0,0]
	;; [unrolled: 2-line block ×4, first 2 shown]
	v_bfi_b32 v15, s4, v28, v16
	v_bfi_b32 v12, s4, v33, v12
	;; [unrolled: 1-line block ×4, first 2 shown]
	v_pk_add_f16 v11, v14, v15 neg_lo:[0,1] neg_hi:[0,1]
	v_pk_add_f16 v13, v19, v12 neg_lo:[0,1] neg_hi:[0,1]
	;; [unrolled: 1-line block ×4, first 2 shown]
	v_pk_fma_f16 v14, v14, 2.0, v11 op_sel_hi:[1,0,1] neg_lo:[0,0,1] neg_hi:[0,0,1]
	v_pk_fma_f16 v16, v19, 2.0, v13 op_sel_hi:[1,0,1] neg_lo:[0,0,1] neg_hi:[0,0,1]
	v_pk_fma_f16 v18, v18, 2.0, v15 op_sel_hi:[1,0,1] neg_lo:[0,0,1] neg_hi:[0,0,1]
	v_pk_fma_f16 v26, v26, 2.0, v17 op_sel_hi:[1,0,1] neg_lo:[0,0,1] neg_hi:[0,0,1]
	v_lshrrev_b32_e32 v29, 16, v11
	v_lshrrev_b32_e32 v28, 16, v13
	;; [unrolled: 1-line block ×3, first 2 shown]
	ds_write2_b32 v20, v26, v17 offset1:8
	ds_write2_b32 v27, v18, v15 offset1:8
	;; [unrolled: 1-line block ×4, first 2 shown]
	v_lshrrev_b32_e32 v34, 16, v14
	v_lshrrev_b32_e32 v37, 16, v16
	;; [unrolled: 1-line block ×5, first 2 shown]
	s_waitcnt lgkmcnt(0)
	s_barrier
	s_waitcnt lgkmcnt(0)
                                        ; implicit-def: $vgpr33
                                        ; implicit-def: $vgpr32
                                        ; implicit-def: $vgpr31
                                        ; implicit-def: $vgpr20
	s_and_saveexec_b64 s[4:5], s[0:1]
	s_cbranch_execz .LBB0_21
; %bb.20:
	ds_read_b32 v26, v22
	ds_read2st64_b32 v[11:12], v6 offset0:7 offset1:8
	ds_read2st64_b32 v[19:20], v6 offset0:9 offset1:10
	;; [unrolled: 1-line block ×5, first 2 shown]
	s_waitcnt lgkmcnt(5)
	v_lshrrev_b32_e32 v27, 16, v26
	s_waitcnt lgkmcnt(4)
	v_lshrrev_b32_e32 v31, 16, v12
	;; [unrolled: 2-line block ×3, first 2 shown]
	v_lshrrev_b32_e32 v33, 16, v20
	s_waitcnt lgkmcnt(2)
	v_lshrrev_b32_e32 v36, 16, v17
	v_lshrrev_b32_e32 v35, 16, v18
	s_waitcnt lgkmcnt(1)
	v_lshrrev_b32_e32 v30, 16, v15
	;; [unrolled: 3-line block ×3, first 2 shown]
	v_lshrrev_b32_e32 v34, 16, v14
	v_lshrrev_b32_e32 v29, 16, v11
.LBB0_21:
	s_or_b64 exec, exec, s[4:5]
	s_barrier
	s_and_saveexec_b64 s[4:5], s[0:1]
	s_cbranch_execz .LBB0_23
; %bb.22:
	v_and_b32_e32 v48, 15, v5
	v_mul_u32_u24_e32 v38, 10, v48
	v_lshlrev_b32_e32 v49, 2, v38
	global_load_dwordx4 v[38:41], v49, s[12:13] offset:56
	global_load_dwordx2 v[46:47], v49, s[12:13] offset:88
	global_load_dwordx4 v[42:45], v49, s[12:13] offset:72
	s_movk_i32 s14, 0x3a0c
	s_mov_b32 s0, 0xb93d
	s_mov_b32 s9, 0xbbeb
	;; [unrolled: 1-line block ×3, first 2 shown]
	s_movk_i32 s15, 0x3853
	s_movk_i32 s16, 0x3482
	s_mov_b32 s17, 0xbb47
	s_movk_i32 s6, 0x3abb
	s_mov_b32 s7, 0xbbad
	;; [unrolled: 2-line block ×3, first 2 shown]
	s_waitcnt vmcnt(2)
	v_mul_f16_sdwa v51, v17, v38 dst_sel:DWORD dst_unused:UNUSED_PAD src0_sel:DWORD src1_sel:WORD_1
	s_waitcnt vmcnt(1)
	v_mul_f16_sdwa v57, v20, v47 dst_sel:DWORD dst_unused:UNUSED_PAD src0_sel:DWORD src1_sel:WORD_1
	v_mul_f16_sdwa v49, v36, v38 dst_sel:DWORD dst_unused:UNUSED_PAD src0_sel:DWORD src1_sel:WORD_1
	;; [unrolled: 1-line block ×5, first 2 shown]
	v_fma_f16 v36, v36, v38, v51
	v_fma_f16 v33, v33, v47, v57
	v_mul_f16_sdwa v50, v35, v39 dst_sel:DWORD dst_unused:UNUSED_PAD src0_sel:DWORD src1_sel:WORD_1
	v_mul_f16_sdwa v53, v30, v40 dst_sel:DWORD dst_unused:UNUSED_PAD src0_sel:DWORD src1_sel:WORD_1
	;; [unrolled: 1-line block ×4, first 2 shown]
	s_waitcnt vmcnt(0)
	v_mul_f16_sdwa v61, v12, v45 dst_sel:DWORD dst_unused:UNUSED_PAD src0_sel:DWORD src1_sel:WORD_1
	v_mul_f16_sdwa v65, v14, v43 dst_sel:DWORD dst_unused:UNUSED_PAD src0_sel:DWORD src1_sel:WORD_1
	;; [unrolled: 1-line block ×3, first 2 shown]
	v_fma_f16 v17, v17, v38, -v49
	v_fma_f16 v35, v35, v39, v52
	v_fma_f16 v20, v20, v47, -v58
	v_fma_f16 v32, v32, v46, v59
	v_add_f16_e32 v38, v36, v33
	v_mul_f16_sdwa v54, v37, v41 dst_sel:DWORD dst_unused:UNUSED_PAD src0_sel:DWORD src1_sel:WORD_1
	v_mul_f16_sdwa v56, v16, v41 dst_sel:DWORD dst_unused:UNUSED_PAD src0_sel:DWORD src1_sel:WORD_1
	;; [unrolled: 1-line block ×6, first 2 shown]
	v_fma_f16 v18, v18, v39, -v50
	v_fma_f16 v15, v15, v40, -v53
	v_fma_f16 v30, v30, v40, v55
	v_fma_f16 v19, v19, v46, -v60
	v_fma_f16 v31, v31, v45, v61
	v_fma_f16 v34, v34, v43, v65
	v_fma_f16 v14, v14, v43, -v68
	v_sub_f16_e32 v39, v17, v20
	v_add_f16_e32 v40, v35, v32
	v_sub_f16_e32 v43, v36, v33
	v_mul_f16_e32 v55, 0xb93d, v38
	v_mul_f16_sdwa v64, v29, v44 dst_sel:DWORD dst_unused:UNUSED_PAD src0_sel:DWORD src1_sel:WORD_1
	v_fma_f16 v16, v16, v41, -v54
	v_fma_f16 v37, v37, v41, v56
	v_fma_f16 v29, v29, v44, v63
	v_fma_f16 v12, v12, v45, -v62
	v_fma_f16 v28, v28, v42, v66
	v_fma_f16 v13, v13, v42, -v67
	v_sub_f16_e32 v41, v18, v19
	v_add_f16_e32 v42, v17, v20
	v_sub_f16_e32 v45, v35, v32
	v_add_f16_e32 v46, v30, v31
	v_mul_f16_e32 v56, 0xb08e, v40
	v_mul_f16_e32 v57, 0xba0c, v43
	v_fma_f16 v63, v39, s14, v55
	v_fma_f16 v11, v11, v44, -v64
	v_add_f16_e32 v44, v18, v19
	v_sub_f16_e32 v47, v15, v12
	v_add_f16_e32 v49, v37, v29
	v_mul_f16_e32 v58, 0x3beb, v45
	v_mul_f16_e32 v59, 0x3abb, v46
	v_fma_f16 v64, v41, s9, v56
	v_fma_f16 v65, v42, s0, v57
	v_add_f16_e32 v63, v27, v63
	v_sub_f16_e32 v50, v16, v11
	v_add_f16_e32 v51, v28, v34
	v_sub_f16_e32 v54, v30, v31
	v_mul_f16_e32 v60, 0xbbad, v49
	v_fma_f16 v66, v44, s1, v58
	v_fma_f16 v67, v47, s15, v59
	v_add_f16_e32 v65, v26, v65
	v_add_f16_e32 v63, v64, v63
	v_sub_f16_e32 v52, v13, v14
	v_add_f16_e32 v53, v15, v12
	v_mul_f16_e32 v61, 0x36a6, v51
	v_mul_f16_e32 v62, 0xb853, v54
	v_fma_f16 v68, v50, s16, v60
	v_add_f16_e32 v64, v66, v65
	v_add_f16_e32 v63, v67, v63
	v_sub_f16_e32 v66, v37, v29
	v_fma_f16 v69, v52, s17, v61
	v_fma_f16 v70, v53, s6, v62
	v_add_f16_e32 v63, v68, v63
	v_add_f16_e32 v65, v16, v11
	v_mul_f16_e32 v67, 0xb482, v66
	v_add_f16_e32 v63, v69, v63
	v_add_f16_e32 v64, v70, v64
	v_fma_f16 v68, v65, s7, v67
	v_sub_f16_e32 v69, v28, v34
	v_add_f16_e32 v64, v68, v64
	v_add_f16_e32 v68, v13, v14
	v_mul_f16_e32 v70, 0x3b47, v69
	v_fma_f16 v71, v68, s8, v70
	v_add_f16_e32 v64, v71, v64
	v_mul_f16_e32 v71, 0xbbad, v38
	v_fma_f16 v72, v39, s16, v71
	v_mul_f16_e32 v73, 0x3abb, v40
	v_add_f16_e32 v72, v27, v72
	v_fma_f16 v74, v41, s18, v73
	v_add_f16_e32 v72, v74, v72
	v_mul_f16_e32 v74, 0xb93d, v46
	v_fma_f16 v73, v41, s15, v73
	s_mov_b32 s15, 0xba0c
	v_fma_f16 v75, v47, s14, v74
	s_movk_i32 s14, 0x3beb
	v_fma_f16 v55, v39, s15, v55
	v_add_f16_e32 v55, v27, v55
	v_fma_f16 v56, v41, s14, v56
	v_add_f16_e32 v72, v75, v72
	v_mul_f16_e32 v75, 0x36a6, v49
	s_mov_b32 s16, 0xb482
	v_add_f16_e32 v55, v56, v55
	v_fma_f16 v56, v47, s18, v59
	v_fma_f16 v76, v50, s17, v75
	s_movk_i32 s17, 0x3b47
	v_add_f16_e32 v55, v56, v55
	v_fma_f16 v56, v50, s16, v60
	v_add_f16_e32 v55, v56, v55
	v_fma_f16 v56, v52, s17, v61
	v_add_f16_e32 v55, v56, v55
	v_fma_f16 v56, v42, s0, -v57
	v_add_f16_e32 v56, v26, v56
	v_fma_f16 v57, v44, s1, -v58
	;; [unrolled: 2-line block ×4, first 2 shown]
	v_add_f16_e32 v72, v76, v72
	v_mul_f16_e32 v76, 0xb08e, v51
	v_add_f16_e32 v56, v57, v56
	v_fma_f16 v57, v68, s8, -v70
	v_fma_f16 v77, v52, s14, v76
	v_fma_f16 v71, v39, s16, v71
	v_add_f16_e32 v56, v57, v56
	v_mul_f16_e32 v57, 0xbbeb, v39
	v_add_f16_e32 v72, v77, v72
	v_mul_f16_e32 v77, 0xb482, v43
	v_add_f16_e32 v71, v27, v71
	v_fma_f16 v58, v38, s1, v57
	v_mul_f16_e32 v59, 0x3482, v41
	v_fma_f16 v78, v42, s7, v77
	v_mul_f16_e32 v79, 0x3853, v45
	v_add_f16_e32 v71, v73, v71
	v_fma_f16 v73, v47, s15, v74
	v_add_f16_e32 v58, v27, v58
	v_fma_f16 v60, v40, s7, v59
	;; [unrolled: 2-line block ×4, first 2 shown]
	v_add_f16_e32 v58, v60, v58
	v_mul_f16_e32 v60, 0x3b47, v47
	v_add_f16_e32 v78, v80, v78
	v_mul_f16_e32 v80, 0xba0c, v54
	v_add_f16_e32 v71, v73, v71
	v_fma_f16 v73, v52, s9, v76
	v_fma_f16 v61, v46, s8, v60
	;; [unrolled: 1-line block ×3, first 2 shown]
	v_add_f16_e32 v71, v73, v71
	v_fma_f16 v73, v42, s7, -v77
	v_add_f16_e32 v58, v61, v58
	v_mul_f16_e32 v61, 0xb853, v50
	v_add_f16_e32 v78, v81, v78
	v_mul_f16_e32 v81, 0x3b47, v66
	v_add_f16_e32 v73, v26, v73
	v_fma_f16 v74, v44, s6, -v79
	v_fma_f16 v62, v49, s6, v61
	v_fma_f16 v82, v65, s8, v81
	v_add_f16_e32 v73, v74, v73
	v_fma_f16 v74, v53, s0, -v80
	v_add_f16_e32 v58, v62, v58
	v_mul_f16_e32 v62, 0xba0c, v52
	v_add_f16_e32 v78, v82, v78
	v_mul_f16_e32 v82, 0xbbeb, v69
	v_add_f16_e32 v73, v74, v73
	v_fma_f16 v74, v65, s8, -v81
	v_fma_f16 v67, v51, s0, v62
	v_add_f16_e32 v73, v74, v73
	v_fma_f16 v74, v68, s1, -v82
	v_add_f16_e32 v58, v67, v58
	v_mul_f16_e32 v67, 0xbbeb, v43
	v_add_f16_e32 v73, v74, v73
	v_fma_f16 v70, v42, s1, -v67
	v_mul_f16_e32 v74, 0x3482, v45
	v_add_f16_e32 v17, v26, v17
	v_add_f16_e32 v70, v26, v70
	v_fma_f16 v75, v44, s7, -v74
	v_add_f16_e32 v17, v17, v18
	v_add_f16_e32 v70, v75, v70
	v_mul_f16_e32 v75, 0x3b47, v54
	v_add_f16_e32 v15, v17, v15
	v_fma_f16 v76, v53, s8, -v75
	v_add_f16_e32 v15, v15, v16
	v_add_f16_e32 v70, v76, v70
	v_mul_f16_e32 v76, 0xb853, v66
	;; [unrolled: 5-line block ×3, first 2 shown]
	v_add_f16_e32 v11, v13, v11
	v_fma_f16 v13, v38, s1, -v57
	v_fma_f16 v79, v68, s0, -v77
	v_add_f16_e32 v13, v27, v13
	v_fma_f16 v14, v40, s7, -v59
	v_add_f16_e32 v70, v79, v70
	v_mul_f16_e32 v79, 0xbb47, v39
	v_add_f16_e32 v13, v14, v13
	v_fma_f16 v14, v46, s8, -v60
	v_fma_f16 v80, v38, s8, v79
	v_mul_f16_e32 v81, 0xba0c, v41
	v_add_f16_e32 v13, v14, v13
	v_fma_f16 v14, v49, s6, -v61
	v_fma_f16 v83, v68, s1, v82
	v_add_f16_e32 v80, v27, v80
	v_fma_f16 v82, v40, s0, v81
	v_add_f16_e32 v13, v14, v13
	v_fma_f16 v14, v51, s0, -v62
	v_add_f16_e32 v80, v82, v80
	v_mul_f16_e32 v82, 0x3482, v47
	v_add_f16_e32 v13, v14, v13
	v_fma_f16 v14, v42, s1, v67
	v_add_f16_e32 v78, v83, v78
	v_fma_f16 v83, v46, s7, v82
	;; [unrolled: 2-line block ×3, first 2 shown]
	v_add_f16_e32 v80, v83, v80
	v_mul_f16_e32 v83, 0x3beb, v50
	v_add_f16_e32 v14, v15, v14
	v_fma_f16 v15, v53, s8, v75
	v_fma_f16 v84, v49, s1, v83
	v_add_f16_e32 v14, v15, v14
	v_fma_f16 v15, v65, s6, v76
	v_add_f16_e32 v80, v84, v80
	v_mul_f16_e32 v84, 0x3853, v52
	v_add_f16_e32 v14, v15, v14
	v_fma_f16 v15, v68, s0, v77
	v_fma_f16 v85, v51, s6, v84
	v_add_f16_e32 v14, v15, v14
	v_fma_f16 v15, v38, s8, -v79
	v_add_f16_e32 v80, v85, v80
	v_mul_f16_e32 v85, 0xbb47, v43
	v_add_f16_e32 v15, v27, v15
	v_fma_f16 v16, v40, s0, -v81
	v_fma_f16 v86, v42, s8, -v85
	v_mul_f16_e32 v87, 0xba0c, v45
	v_add_f16_e32 v15, v16, v15
	v_fma_f16 v16, v46, s7, -v82
	v_add_f16_e32 v86, v26, v86
	v_fma_f16 v88, v44, s0, -v87
	;; [unrolled: 2-line block ×3, first 2 shown]
	v_add_f16_e32 v86, v88, v86
	v_mul_f16_e32 v88, 0x3482, v54
	v_add_f16_e32 v15, v16, v15
	v_fma_f16 v16, v51, s6, -v84
	v_fma_f16 v89, v53, s7, -v88
	v_add_f16_e32 v15, v16, v15
	v_fma_f16 v16, v42, s8, v85
	v_add_f16_e32 v86, v89, v86
	v_mul_f16_e32 v89, 0x3beb, v66
	v_add_f16_e32 v16, v26, v16
	v_fma_f16 v17, v44, s0, v87
	v_fma_f16 v90, v65, s1, -v89
	v_add_f16_e32 v16, v17, v16
	v_fma_f16 v17, v53, s7, v88
	v_add_f16_e32 v86, v90, v86
	v_mul_f16_e32 v90, 0x3853, v69
	v_add_f16_e32 v16, v17, v16
	v_fma_f16 v17, v65, s1, v89
	v_mul_f16_e32 v39, 0xb853, v39
	v_add_f16_e32 v16, v17, v16
	v_fma_f16 v17, v68, s6, v90
	v_mul_f16_e32 v41, 0xbb47, v41
	v_add_f16_e32 v16, v17, v16
	v_fma_f16 v17, v38, s6, -v39
	v_mul_f16_e32 v47, 0xbbeb, v47
	v_add_f16_e32 v17, v27, v17
	v_fma_f16 v18, v40, s8, -v41
	v_fma_f16 v91, v68, s6, -v90
	v_mul_f16_e32 v50, 0xba0c, v50
	v_add_f16_e32 v17, v18, v17
	v_fma_f16 v18, v46, s1, -v47
	v_add_f16_e32 v86, v91, v86
	v_fma_f16 v91, v38, s6, v39
	v_mul_f16_e32 v52, 0xb482, v52
	v_add_f16_e32 v17, v18, v17
	v_fma_f16 v18, v49, s0, -v50
	v_add_f16_e32 v91, v27, v91
	v_fma_f16 v92, v40, s8, v41
	v_mul_f16_e32 v43, 0xb853, v43
	v_add_f16_e32 v11, v11, v12
	v_add_f16_e32 v12, v27, v36
	;; [unrolled: 1-line block ×3, first 2 shown]
	v_fma_f16 v18, v51, s7, -v52
	v_add_f16_e32 v91, v92, v91
	v_fma_f16 v92, v46, s1, v47
	v_mul_f16_e32 v45, 0xbb47, v45
	v_add_f16_e32 v12, v12, v35
	v_add_f16_e32 v17, v18, v17
	v_fma_f16 v18, v42, s6, v43
	v_add_f16_e32 v91, v92, v91
	v_fma_f16 v92, v49, s0, v50
	v_mul_f16_e32 v54, 0xbbeb, v54
	v_add_f16_e32 v11, v11, v19
	v_add_f16_e32 v12, v12, v30
	;; [unrolled: 1-line block ×3, first 2 shown]
	v_fma_f16 v19, v44, s8, v45
	v_add_f16_e32 v91, v92, v91
	v_fma_f16 v92, v51, s7, v52
	v_mul_f16_e32 v66, 0xba0c, v66
	v_add_f16_e32 v12, v12, v37
	v_add_f16_e32 v18, v19, v18
	v_fma_f16 v19, v53, s1, v54
	v_add_f16_e32 v91, v92, v91
	v_fma_f16 v92, v42, s6, -v43
	v_mul_f16_e32 v69, 0xb482, v69
	v_add_f16_e32 v12, v12, v28
	v_add_f16_e32 v18, v19, v18
	v_fma_f16 v19, v65, s0, v66
	v_add_f16_e32 v92, v26, v92
	v_fma_f16 v93, v44, s8, -v45
	v_add_f16_e32 v12, v12, v34
	v_add_f16_e32 v18, v19, v18
	v_fma_f16 v19, v68, s7, v69
	v_add_f16_e32 v92, v93, v92
	v_fma_f16 v93, v53, s1, -v54
	v_add_f16_e32 v12, v12, v29
	v_add_f16_e32 v18, v19, v18
	v_lshrrev_b32_e32 v19, 4, v5
	v_add_f16_e32 v92, v93, v92
	v_fma_f16 v93, v65, s0, -v66
	v_add_f16_e32 v12, v12, v31
	v_mul_u32_u24_e32 v19, 0xb0, v19
	v_add_f16_e32 v92, v93, v92
	v_fma_f16 v93, v68, s7, -v69
	v_add_f16_e32 v12, v12, v32
	v_or_b32_e32 v19, v19, v48
	v_add_f16_e32 v92, v93, v92
	v_add_f16_e32 v11, v11, v20
	;; [unrolled: 1-line block ×3, first 2 shown]
	v_lshlrev_b32_e32 v19, 2, v19
	v_add3_u32 v19, 0, v19, v23
	v_pack_b32_f16 v11, v11, v12
	v_pack_b32_f16 v12, v92, v91
	ds_write2_b32 v19, v11, v12 offset1:16
	v_pack_b32_f16 v11, v86, v80
	v_pack_b32_f16 v12, v70, v58
	ds_write2_b32 v19, v11, v12 offset0:32 offset1:48
	v_pack_b32_f16 v11, v56, v55
	v_pack_b32_f16 v12, v73, v71
	ds_write2_b32 v19, v11, v12 offset0:64 offset1:80
	;; [unrolled: 3-line block ×4, first 2 shown]
	v_pack_b32_f16 v11, v18, v17
	ds_write_b32 v19, v11 offset:640
.LBB0_23:
	s_or_b64 exec, exec, s[4:5]
	v_mov_b32_e32 v11, s13
	v_add_co_u32_e64 v7, s[0:1], s12, v7
	v_addc_co_u32_e64 v8, s[0:1], v11, v8, s[0:1]
	v_add_co_u32_e64 v9, s[0:1], s12, v9
	s_waitcnt lgkmcnt(0)
	s_barrier
	v_addc_co_u32_e64 v10, s[0:1], v11, v10, s[0:1]
	global_load_dword v17, v[7:8], off offset:696
	global_load_dword v18, v[9:10], off offset:1048
	v_sub_u32_e32 v13, v25, v24
	v_add_u32_e32 v19, 0x400, v6
	ds_read2_b32 v[11:12], v6 offset0:88 offset1:176
	v_add_u32_e32 v20, 0x600, v6
	ds_read_b32 v23, v22
	ds_read_b32 v24, v6 offset:2464
	v_lshl_add_u32 v21, v21, 2, v13
	ds_read2_b32 v[13:14], v19 offset0:8 offset1:96
	ds_read2_b32 v[15:16], v20 offset0:56 offset1:144
	s_mov_b32 s0, 0xffff
	v_add_u32_e32 v25, 0x500, v6
	s_waitcnt vmcnt(0) lgkmcnt(0)
	s_barrier
	v_add_u32_e32 v26, 0x600, v21
	v_pk_mul_f16 v27, v17, v14 op_sel:[0,1]
	v_pk_mul_f16 v28, v18, v15 op_sel:[0,1]
	;; [unrolled: 1-line block ×4, first 2 shown]
	v_pk_fma_f16 v31, v17, v14, v27 op_sel:[0,0,1] op_sel_hi:[1,1,0] neg_lo:[0,0,1] neg_hi:[0,0,1]
	v_pk_fma_f16 v14, v17, v14, v27 op_sel:[0,0,1] op_sel_hi:[1,0,0]
	v_pk_fma_f16 v27, v18, v15, v28 op_sel:[0,0,1] op_sel_hi:[1,1,0] neg_lo:[0,0,1] neg_hi:[0,0,1]
	v_pk_fma_f16 v15, v18, v15, v28 op_sel:[0,0,1] op_sel_hi:[1,0,0]
	;; [unrolled: 2-line block ×4, first 2 shown]
	v_bfi_b32 v17, s0, v17, v18
	v_bfi_b32 v14, s0, v31, v14
	;; [unrolled: 1-line block ×4, first 2 shown]
	v_pk_add_f16 v17, v13, v17 neg_lo:[0,1] neg_hi:[0,1]
	v_pk_add_f16 v14, v23, v14 neg_lo:[0,1] neg_hi:[0,1]
	;; [unrolled: 1-line block ×4, first 2 shown]
	v_pk_fma_f16 v13, v13, 2.0, v17 op_sel_hi:[1,0,1] neg_lo:[0,0,1] neg_hi:[0,0,1]
	v_pk_fma_f16 v18, v23, 2.0, v14 op_sel_hi:[1,0,1] neg_lo:[0,0,1] neg_hi:[0,0,1]
	v_pk_fma_f16 v11, v11, 2.0, v15 op_sel_hi:[1,0,1] neg_lo:[0,0,1] neg_hi:[0,0,1]
	v_pk_fma_f16 v12, v12, 2.0, v16 op_sel_hi:[1,0,1] neg_lo:[0,0,1] neg_hi:[0,0,1]
	ds_write_b32 v6, v14 offset:704
	ds_write2_b32 v6, v18, v11 offset1:88
	ds_write_b32 v21, v15 offset:1056
	ds_write2_b32 v25, v12, v16 offset0:32 offset1:208
	ds_write2_b32 v26, v13, v17 offset0:56 offset1:232
	s_waitcnt lgkmcnt(0)
	s_barrier
	global_load_dword v13, v[7:8], off offset:1400
	global_load_dword v14, v[9:10], off offset:1752
	;; [unrolled: 1-line block ×4, first 2 shown]
	ds_read2_b32 v[7:8], v19 offset0:8 offset1:96
	ds_read2_b32 v[9:10], v6 offset0:88 offset1:176
	ds_read2_b32 v[11:12], v20 offset0:56 offset1:144
	ds_read_b32 v17, v22
	ds_read_b32 v18, v6 offset:2464
	s_waitcnt vmcnt(0) lgkmcnt(0)
	s_barrier
	v_pk_mul_f16 v19, v13, v8 op_sel:[0,1]
	v_pk_mul_f16 v20, v14, v11 op_sel:[0,1]
	;; [unrolled: 1-line block ×4, first 2 shown]
	v_pk_fma_f16 v24, v13, v8, v19 op_sel:[0,0,1] op_sel_hi:[1,1,0] neg_lo:[0,0,1] neg_hi:[0,0,1]
	v_pk_fma_f16 v8, v13, v8, v19 op_sel:[0,0,1] op_sel_hi:[1,0,0]
	v_pk_fma_f16 v13, v14, v11, v20 op_sel:[0,0,1] op_sel_hi:[1,1,0] neg_lo:[0,0,1] neg_hi:[0,0,1]
	v_pk_fma_f16 v11, v14, v11, v20 op_sel:[0,0,1] op_sel_hi:[1,0,0]
	;; [unrolled: 2-line block ×4, first 2 shown]
	v_bfi_b32 v8, s0, v24, v8
	v_bfi_b32 v11, s0, v13, v11
	v_bfi_b32 v12, s0, v14, v12
	v_bfi_b32 v13, s0, v15, v16
	v_pk_add_f16 v8, v17, v8 neg_lo:[0,1] neg_hi:[0,1]
	v_pk_add_f16 v11, v9, v11 neg_lo:[0,1] neg_hi:[0,1]
	;; [unrolled: 1-line block ×4, first 2 shown]
	v_pk_fma_f16 v14, v17, 2.0, v8 op_sel_hi:[1,0,1] neg_lo:[0,0,1] neg_hi:[0,0,1]
	v_pk_fma_f16 v9, v9, 2.0, v11 op_sel_hi:[1,0,1] neg_lo:[0,0,1] neg_hi:[0,0,1]
	;; [unrolled: 1-line block ×4, first 2 shown]
	ds_write_b32 v6, v8 offset:1408
	ds_write2_b32 v6, v14, v9 offset1:88
	ds_write_b32 v21, v11 offset:1760
	ds_write_b32 v6, v10 offset:704
	;; [unrolled: 1-line block ×5, first 2 shown]
	s_waitcnt lgkmcnt(0)
	s_barrier
	s_and_saveexec_b64 s[0:1], vcc
	s_cbranch_execz .LBB0_25
; %bb.24:
	v_mul_lo_u32 v6, s3, v3
	v_mul_lo_u32 v7, s2, v4
	v_mad_u64_u32 v[3:4], s[0:1], s2, v3, 0
	v_lshl_add_u32 v9, v5, 2, v0
	v_mov_b32_e32 v0, s11
	v_add3_u32 v4, v4, v7, v6
	v_lshlrev_b64 v[3:4], 2, v[3:4]
	v_mov_b32_e32 v6, 0
	v_add_co_u32_e32 v3, vcc, s10, v3
	v_addc_co_u32_e32 v4, vcc, v0, v4, vcc
	v_lshlrev_b64 v[0:1], 2, v[1:2]
	ds_read2_b32 v[7:8], v9 offset1:88
	v_add_co_u32_e32 v10, vcc, v3, v0
	v_addc_co_u32_e32 v4, vcc, v4, v1, vcc
	v_lshlrev_b64 v[0:1], 2, v[5:6]
	v_add_u32_e32 v2, 0x200, v9
	v_add_co_u32_e32 v0, vcc, v10, v0
	v_addc_co_u32_e32 v1, vcc, v4, v1, vcc
	s_waitcnt lgkmcnt(0)
	global_store_dword v[0:1], v7, off
	v_add_u32_e32 v0, 0x58, v5
	v_mov_b32_e32 v1, v6
	v_lshlrev_b64 v[0:1], 2, v[0:1]
	ds_read2_b32 v[2:3], v2 offset0:48 offset1:136
	v_add_co_u32_e32 v0, vcc, v10, v0
	v_addc_co_u32_e32 v1, vcc, v4, v1, vcc
	global_store_dword v[0:1], v8, off
	v_add_u32_e32 v0, 0xb0, v5
	v_mov_b32_e32 v1, v6
	v_lshlrev_b64 v[0:1], 2, v[0:1]
	v_add_co_u32_e32 v0, vcc, v10, v0
	v_addc_co_u32_e32 v1, vcc, v4, v1, vcc
	s_waitcnt lgkmcnt(0)
	global_store_dword v[0:1], v2, off
	v_add_u32_e32 v0, 0x108, v5
	v_mov_b32_e32 v1, v6
	v_lshlrev_b64 v[0:1], 2, v[0:1]
	v_add_u32_e32 v2, 0x400, v9
	v_add_co_u32_e32 v0, vcc, v10, v0
	v_addc_co_u32_e32 v1, vcc, v4, v1, vcc
	global_store_dword v[0:1], v3, off
	v_add_u32_e32 v0, 0x160, v5
	v_mov_b32_e32 v1, v6
	ds_read2_b32 v[2:3], v2 offset0:96 offset1:184
	v_lshlrev_b64 v[0:1], 2, v[0:1]
	v_add_co_u32_e32 v0, vcc, v10, v0
	v_addc_co_u32_e32 v1, vcc, v4, v1, vcc
	s_waitcnt lgkmcnt(0)
	global_store_dword v[0:1], v2, off
	v_add_u32_e32 v0, 0x1b8, v5
	v_mov_b32_e32 v1, v6
	v_lshlrev_b64 v[0:1], 2, v[0:1]
	v_add_u32_e32 v2, 0x800, v9
	v_add_co_u32_e32 v0, vcc, v10, v0
	v_addc_co_u32_e32 v1, vcc, v4, v1, vcc
	global_store_dword v[0:1], v3, off
	v_add_u32_e32 v0, 0x210, v5
	v_mov_b32_e32 v1, v6
	ds_read2_b32 v[2:3], v2 offset0:16 offset1:104
	v_lshlrev_b64 v[0:1], 2, v[0:1]
	v_add_u32_e32 v5, 0x268, v5
	v_add_co_u32_e32 v0, vcc, v10, v0
	v_addc_co_u32_e32 v1, vcc, v4, v1, vcc
	s_waitcnt lgkmcnt(0)
	global_store_dword v[0:1], v2, off
	v_lshlrev_b64 v[0:1], 2, v[5:6]
	v_add_co_u32_e32 v0, vcc, v10, v0
	v_addc_co_u32_e32 v1, vcc, v4, v1, vcc
	global_store_dword v[0:1], v3, off
.LBB0_25:
	s_endpgm
	.section	.rodata,"a",@progbits
	.p2align	6, 0x0
	.amdhsa_kernel fft_rtc_fwd_len704_factors_2_2_2_2_11_2_2_wgs_176_tpt_88_halfLds_half_op_CI_CI_unitstride_sbrr_C2R_dirReg
		.amdhsa_group_segment_fixed_size 0
		.amdhsa_private_segment_fixed_size 0
		.amdhsa_kernarg_size 104
		.amdhsa_user_sgpr_count 6
		.amdhsa_user_sgpr_private_segment_buffer 1
		.amdhsa_user_sgpr_dispatch_ptr 0
		.amdhsa_user_sgpr_queue_ptr 0
		.amdhsa_user_sgpr_kernarg_segment_ptr 1
		.amdhsa_user_sgpr_dispatch_id 0
		.amdhsa_user_sgpr_flat_scratch_init 0
		.amdhsa_user_sgpr_private_segment_size 0
		.amdhsa_uses_dynamic_stack 0
		.amdhsa_system_sgpr_private_segment_wavefront_offset 0
		.amdhsa_system_sgpr_workgroup_id_x 1
		.amdhsa_system_sgpr_workgroup_id_y 0
		.amdhsa_system_sgpr_workgroup_id_z 0
		.amdhsa_system_sgpr_workgroup_info 0
		.amdhsa_system_vgpr_workitem_id 0
		.amdhsa_next_free_vgpr 94
		.amdhsa_next_free_sgpr 28
		.amdhsa_reserve_vcc 1
		.amdhsa_reserve_flat_scratch 0
		.amdhsa_float_round_mode_32 0
		.amdhsa_float_round_mode_16_64 0
		.amdhsa_float_denorm_mode_32 3
		.amdhsa_float_denorm_mode_16_64 3
		.amdhsa_dx10_clamp 1
		.amdhsa_ieee_mode 1
		.amdhsa_fp16_overflow 0
		.amdhsa_exception_fp_ieee_invalid_op 0
		.amdhsa_exception_fp_denorm_src 0
		.amdhsa_exception_fp_ieee_div_zero 0
		.amdhsa_exception_fp_ieee_overflow 0
		.amdhsa_exception_fp_ieee_underflow 0
		.amdhsa_exception_fp_ieee_inexact 0
		.amdhsa_exception_int_div_zero 0
	.end_amdhsa_kernel
	.text
.Lfunc_end0:
	.size	fft_rtc_fwd_len704_factors_2_2_2_2_11_2_2_wgs_176_tpt_88_halfLds_half_op_CI_CI_unitstride_sbrr_C2R_dirReg, .Lfunc_end0-fft_rtc_fwd_len704_factors_2_2_2_2_11_2_2_wgs_176_tpt_88_halfLds_half_op_CI_CI_unitstride_sbrr_C2R_dirReg
                                        ; -- End function
	.section	.AMDGPU.csdata,"",@progbits
; Kernel info:
; codeLenInByte = 7608
; NumSgprs: 32
; NumVgprs: 94
; ScratchSize: 0
; MemoryBound: 0
; FloatMode: 240
; IeeeMode: 1
; LDSByteSize: 0 bytes/workgroup (compile time only)
; SGPRBlocks: 3
; VGPRBlocks: 23
; NumSGPRsForWavesPerEU: 32
; NumVGPRsForWavesPerEU: 94
; Occupancy: 2
; WaveLimiterHint : 1
; COMPUTE_PGM_RSRC2:SCRATCH_EN: 0
; COMPUTE_PGM_RSRC2:USER_SGPR: 6
; COMPUTE_PGM_RSRC2:TRAP_HANDLER: 0
; COMPUTE_PGM_RSRC2:TGID_X_EN: 1
; COMPUTE_PGM_RSRC2:TGID_Y_EN: 0
; COMPUTE_PGM_RSRC2:TGID_Z_EN: 0
; COMPUTE_PGM_RSRC2:TIDIG_COMP_CNT: 0
	.type	__hip_cuid_f0011ade92ccb38d,@object ; @__hip_cuid_f0011ade92ccb38d
	.section	.bss,"aw",@nobits
	.globl	__hip_cuid_f0011ade92ccb38d
__hip_cuid_f0011ade92ccb38d:
	.byte	0                               ; 0x0
	.size	__hip_cuid_f0011ade92ccb38d, 1

	.ident	"AMD clang version 19.0.0git (https://github.com/RadeonOpenCompute/llvm-project roc-6.4.0 25133 c7fe45cf4b819c5991fe208aaa96edf142730f1d)"
	.section	".note.GNU-stack","",@progbits
	.addrsig
	.addrsig_sym __hip_cuid_f0011ade92ccb38d
	.amdgpu_metadata
---
amdhsa.kernels:
  - .args:
      - .actual_access:  read_only
        .address_space:  global
        .offset:         0
        .size:           8
        .value_kind:     global_buffer
      - .offset:         8
        .size:           8
        .value_kind:     by_value
      - .actual_access:  read_only
        .address_space:  global
        .offset:         16
        .size:           8
        .value_kind:     global_buffer
      - .actual_access:  read_only
        .address_space:  global
        .offset:         24
        .size:           8
        .value_kind:     global_buffer
      - .actual_access:  read_only
        .address_space:  global
        .offset:         32
        .size:           8
        .value_kind:     global_buffer
      - .offset:         40
        .size:           8
        .value_kind:     by_value
      - .actual_access:  read_only
        .address_space:  global
        .offset:         48
        .size:           8
        .value_kind:     global_buffer
      - .actual_access:  read_only
        .address_space:  global
        .offset:         56
        .size:           8
        .value_kind:     global_buffer
      - .offset:         64
        .size:           4
        .value_kind:     by_value
      - .actual_access:  read_only
        .address_space:  global
        .offset:         72
        .size:           8
        .value_kind:     global_buffer
      - .actual_access:  read_only
        .address_space:  global
        .offset:         80
        .size:           8
        .value_kind:     global_buffer
      - .actual_access:  read_only
        .address_space:  global
        .offset:         88
        .size:           8
        .value_kind:     global_buffer
      - .actual_access:  write_only
        .address_space:  global
        .offset:         96
        .size:           8
        .value_kind:     global_buffer
    .group_segment_fixed_size: 0
    .kernarg_segment_align: 8
    .kernarg_segment_size: 104
    .language:       OpenCL C
    .language_version:
      - 2
      - 0
    .max_flat_workgroup_size: 176
    .name:           fft_rtc_fwd_len704_factors_2_2_2_2_11_2_2_wgs_176_tpt_88_halfLds_half_op_CI_CI_unitstride_sbrr_C2R_dirReg
    .private_segment_fixed_size: 0
    .sgpr_count:     32
    .sgpr_spill_count: 0
    .symbol:         fft_rtc_fwd_len704_factors_2_2_2_2_11_2_2_wgs_176_tpt_88_halfLds_half_op_CI_CI_unitstride_sbrr_C2R_dirReg.kd
    .uniform_work_group_size: 1
    .uses_dynamic_stack: false
    .vgpr_count:     94
    .vgpr_spill_count: 0
    .wavefront_size: 64
amdhsa.target:   amdgcn-amd-amdhsa--gfx906
amdhsa.version:
  - 1
  - 2
...

	.end_amdgpu_metadata
